;; amdgpu-corpus repo=ROCm/rocFFT kind=compiled arch=gfx1201 opt=O3
	.text
	.amdgcn_target "amdgcn-amd-amdhsa--gfx1201"
	.amdhsa_code_object_version 6
	.protected	fft_rtc_back_len60_factors_6_10_wgs_60_tpt_10_halfLds_sp_ip_CI_unitstride_sbrr_R2C_dirReg ; -- Begin function fft_rtc_back_len60_factors_6_10_wgs_60_tpt_10_halfLds_sp_ip_CI_unitstride_sbrr_R2C_dirReg
	.globl	fft_rtc_back_len60_factors_6_10_wgs_60_tpt_10_halfLds_sp_ip_CI_unitstride_sbrr_R2C_dirReg
	.p2align	8
	.type	fft_rtc_back_len60_factors_6_10_wgs_60_tpt_10_halfLds_sp_ip_CI_unitstride_sbrr_R2C_dirReg,@function
fft_rtc_back_len60_factors_6_10_wgs_60_tpt_10_halfLds_sp_ip_CI_unitstride_sbrr_R2C_dirReg: ; @fft_rtc_back_len60_factors_6_10_wgs_60_tpt_10_halfLds_sp_ip_CI_unitstride_sbrr_R2C_dirReg
; %bb.0:
	s_load_b128 s[4:7], s[0:1], 0x0
	v_mul_u32_u24_e32 v1, 0x199a, v0
	s_clause 0x1
	s_load_b64 s[8:9], s[0:1], 0x50
	s_load_b64 s[10:11], s[0:1], 0x18
	v_mov_b32_e32 v5, 0
	v_lshrrev_b32_e32 v1, 16, v1
	s_delay_alu instid0(VALU_DEP_1) | instskip(SKIP_3) | instid1(VALU_DEP_1)
	v_mad_co_u64_u32 v[1:2], null, ttmp9, 6, v[1:2]
	v_mov_b32_e32 v3, 0
	v_mov_b32_e32 v4, 0
	;; [unrolled: 1-line block ×4, first 2 shown]
	s_wait_kmcnt 0x0
	v_cmp_lt_u64_e64 s2, s[6:7], 2
	v_mov_b32_e32 v9, v1
	s_delay_alu instid0(VALU_DEP_2)
	s_and_b32 vcc_lo, exec_lo, s2
	s_cbranch_vccnz .LBB0_8
; %bb.1:
	s_load_b64 s[2:3], s[0:1], 0x10
	v_dual_mov_b32 v3, 0 :: v_dual_mov_b32 v8, v2
	v_dual_mov_b32 v4, 0 :: v_dual_mov_b32 v7, v1
	s_add_nc_u64 s[12:13], s[10:11], 8
	s_mov_b64 s[14:15], 1
	s_wait_kmcnt 0x0
	s_add_nc_u64 s[16:17], s[2:3], 8
	s_mov_b32 s3, 0
.LBB0_2:                                ; =>This Inner Loop Header: Depth=1
	s_load_b64 s[18:19], s[16:17], 0x0
                                        ; implicit-def: $vgpr9_vgpr10
	s_mov_b32 s2, exec_lo
	s_wait_kmcnt 0x0
	v_or_b32_e32 v6, s19, v8
	s_delay_alu instid0(VALU_DEP_1)
	v_cmpx_ne_u64_e32 0, v[5:6]
	s_wait_alu 0xfffe
	s_xor_b32 s20, exec_lo, s2
	s_cbranch_execz .LBB0_4
; %bb.3:                                ;   in Loop: Header=BB0_2 Depth=1
	s_cvt_f32_u32 s2, s18
	s_cvt_f32_u32 s21, s19
	s_sub_nc_u64 s[24:25], 0, s[18:19]
	s_wait_alu 0xfffe
	s_delay_alu instid0(SALU_CYCLE_1) | instskip(SKIP_1) | instid1(SALU_CYCLE_2)
	s_fmamk_f32 s2, s21, 0x4f800000, s2
	s_wait_alu 0xfffe
	v_s_rcp_f32 s2, s2
	s_delay_alu instid0(TRANS32_DEP_1) | instskip(SKIP_1) | instid1(SALU_CYCLE_2)
	s_mul_f32 s2, s2, 0x5f7ffffc
	s_wait_alu 0xfffe
	s_mul_f32 s21, s2, 0x2f800000
	s_wait_alu 0xfffe
	s_delay_alu instid0(SALU_CYCLE_2) | instskip(SKIP_1) | instid1(SALU_CYCLE_2)
	s_trunc_f32 s21, s21
	s_wait_alu 0xfffe
	s_fmamk_f32 s2, s21, 0xcf800000, s2
	s_cvt_u32_f32 s23, s21
	s_wait_alu 0xfffe
	s_delay_alu instid0(SALU_CYCLE_1) | instskip(SKIP_1) | instid1(SALU_CYCLE_2)
	s_cvt_u32_f32 s22, s2
	s_wait_alu 0xfffe
	s_mul_u64 s[26:27], s[24:25], s[22:23]
	s_wait_alu 0xfffe
	s_mul_hi_u32 s29, s22, s27
	s_mul_i32 s28, s22, s27
	s_mul_hi_u32 s2, s22, s26
	s_mul_i32 s30, s23, s26
	s_wait_alu 0xfffe
	s_add_nc_u64 s[28:29], s[2:3], s[28:29]
	s_mul_hi_u32 s21, s23, s26
	s_mul_hi_u32 s31, s23, s27
	s_add_co_u32 s2, s28, s30
	s_wait_alu 0xfffe
	s_add_co_ci_u32 s2, s29, s21
	s_mul_i32 s26, s23, s27
	s_add_co_ci_u32 s27, s31, 0
	s_wait_alu 0xfffe
	s_add_nc_u64 s[26:27], s[2:3], s[26:27]
	s_wait_alu 0xfffe
	v_add_co_u32 v2, s2, s22, s26
	s_delay_alu instid0(VALU_DEP_1) | instskip(SKIP_1) | instid1(VALU_DEP_1)
	s_cmp_lg_u32 s2, 0
	s_add_co_ci_u32 s23, s23, s27
	v_readfirstlane_b32 s22, v2
	s_wait_alu 0xfffe
	s_delay_alu instid0(VALU_DEP_1)
	s_mul_u64 s[24:25], s[24:25], s[22:23]
	s_wait_alu 0xfffe
	s_mul_hi_u32 s27, s22, s25
	s_mul_i32 s26, s22, s25
	s_mul_hi_u32 s2, s22, s24
	s_mul_i32 s28, s23, s24
	s_wait_alu 0xfffe
	s_add_nc_u64 s[26:27], s[2:3], s[26:27]
	s_mul_hi_u32 s21, s23, s24
	s_mul_hi_u32 s22, s23, s25
	s_wait_alu 0xfffe
	s_add_co_u32 s2, s26, s28
	s_add_co_ci_u32 s2, s27, s21
	s_mul_i32 s24, s23, s25
	s_add_co_ci_u32 s25, s22, 0
	s_wait_alu 0xfffe
	s_add_nc_u64 s[24:25], s[2:3], s[24:25]
	s_wait_alu 0xfffe
	v_add_co_u32 v2, s2, v2, s24
	s_delay_alu instid0(VALU_DEP_1) | instskip(SKIP_1) | instid1(VALU_DEP_1)
	s_cmp_lg_u32 s2, 0
	s_add_co_ci_u32 s2, s23, s25
	v_mul_hi_u32 v6, v7, v2
	s_wait_alu 0xfffe
	v_mad_co_u64_u32 v[9:10], null, v7, s2, 0
	v_mad_co_u64_u32 v[11:12], null, v8, v2, 0
	;; [unrolled: 1-line block ×3, first 2 shown]
	s_delay_alu instid0(VALU_DEP_3) | instskip(SKIP_1) | instid1(VALU_DEP_4)
	v_add_co_u32 v2, vcc_lo, v6, v9
	s_wait_alu 0xfffd
	v_add_co_ci_u32_e32 v6, vcc_lo, 0, v10, vcc_lo
	s_delay_alu instid0(VALU_DEP_2) | instskip(SKIP_1) | instid1(VALU_DEP_2)
	v_add_co_u32 v2, vcc_lo, v2, v11
	s_wait_alu 0xfffd
	v_add_co_ci_u32_e32 v2, vcc_lo, v6, v12, vcc_lo
	s_wait_alu 0xfffd
	v_add_co_ci_u32_e32 v6, vcc_lo, 0, v14, vcc_lo
	s_delay_alu instid0(VALU_DEP_2) | instskip(SKIP_1) | instid1(VALU_DEP_2)
	v_add_co_u32 v2, vcc_lo, v2, v13
	s_wait_alu 0xfffd
	v_add_co_ci_u32_e32 v6, vcc_lo, 0, v6, vcc_lo
	s_delay_alu instid0(VALU_DEP_2) | instskip(SKIP_1) | instid1(VALU_DEP_3)
	v_mul_lo_u32 v11, s19, v2
	v_mad_co_u64_u32 v[9:10], null, s18, v2, 0
	v_mul_lo_u32 v12, s18, v6
	s_delay_alu instid0(VALU_DEP_2) | instskip(NEXT) | instid1(VALU_DEP_2)
	v_sub_co_u32 v9, vcc_lo, v7, v9
	v_add3_u32 v10, v10, v12, v11
	s_delay_alu instid0(VALU_DEP_1) | instskip(SKIP_1) | instid1(VALU_DEP_1)
	v_sub_nc_u32_e32 v11, v8, v10
	s_wait_alu 0xfffd
	v_subrev_co_ci_u32_e64 v11, s2, s19, v11, vcc_lo
	v_add_co_u32 v12, s2, v2, 2
	s_wait_alu 0xf1ff
	v_add_co_ci_u32_e64 v13, s2, 0, v6, s2
	v_sub_co_u32 v14, s2, v9, s18
	v_sub_co_ci_u32_e32 v10, vcc_lo, v8, v10, vcc_lo
	s_wait_alu 0xf1ff
	v_subrev_co_ci_u32_e64 v11, s2, 0, v11, s2
	s_delay_alu instid0(VALU_DEP_3) | instskip(NEXT) | instid1(VALU_DEP_3)
	v_cmp_le_u32_e32 vcc_lo, s18, v14
	v_cmp_eq_u32_e64 s2, s19, v10
	s_wait_alu 0xfffd
	v_cndmask_b32_e64 v14, 0, -1, vcc_lo
	v_cmp_le_u32_e32 vcc_lo, s19, v11
	s_wait_alu 0xfffd
	v_cndmask_b32_e64 v15, 0, -1, vcc_lo
	v_cmp_le_u32_e32 vcc_lo, s18, v9
	;; [unrolled: 3-line block ×3, first 2 shown]
	s_wait_alu 0xfffd
	v_cndmask_b32_e64 v16, 0, -1, vcc_lo
	v_cmp_eq_u32_e32 vcc_lo, s19, v11
	s_wait_alu 0xf1ff
	s_delay_alu instid0(VALU_DEP_2)
	v_cndmask_b32_e64 v9, v16, v9, s2
	s_wait_alu 0xfffd
	v_cndmask_b32_e32 v11, v15, v14, vcc_lo
	v_add_co_u32 v14, vcc_lo, v2, 1
	s_wait_alu 0xfffd
	v_add_co_ci_u32_e32 v15, vcc_lo, 0, v6, vcc_lo
	s_delay_alu instid0(VALU_DEP_3) | instskip(SKIP_1) | instid1(VALU_DEP_2)
	v_cmp_ne_u32_e32 vcc_lo, 0, v11
	s_wait_alu 0xfffd
	v_dual_cndmask_b32 v10, v15, v13 :: v_dual_cndmask_b32 v11, v14, v12
	v_cmp_ne_u32_e32 vcc_lo, 0, v9
	s_wait_alu 0xfffd
	s_delay_alu instid0(VALU_DEP_2) | instskip(NEXT) | instid1(VALU_DEP_3)
	v_cndmask_b32_e32 v10, v6, v10, vcc_lo
	v_cndmask_b32_e32 v9, v2, v11, vcc_lo
.LBB0_4:                                ;   in Loop: Header=BB0_2 Depth=1
	s_wait_alu 0xfffe
	s_and_not1_saveexec_b32 s2, s20
	s_cbranch_execz .LBB0_6
; %bb.5:                                ;   in Loop: Header=BB0_2 Depth=1
	v_cvt_f32_u32_e32 v2, s18
	s_sub_co_i32 s20, 0, s18
	s_delay_alu instid0(VALU_DEP_1) | instskip(NEXT) | instid1(TRANS32_DEP_1)
	v_rcp_iflag_f32_e32 v2, v2
	v_mul_f32_e32 v2, 0x4f7ffffe, v2
	s_delay_alu instid0(VALU_DEP_1) | instskip(SKIP_1) | instid1(VALU_DEP_1)
	v_cvt_u32_f32_e32 v2, v2
	s_wait_alu 0xfffe
	v_mul_lo_u32 v6, s20, v2
	s_delay_alu instid0(VALU_DEP_1) | instskip(NEXT) | instid1(VALU_DEP_1)
	v_mul_hi_u32 v6, v2, v6
	v_add_nc_u32_e32 v2, v2, v6
	s_delay_alu instid0(VALU_DEP_1) | instskip(NEXT) | instid1(VALU_DEP_1)
	v_mul_hi_u32 v2, v7, v2
	v_mul_lo_u32 v6, v2, s18
	v_add_nc_u32_e32 v9, 1, v2
	s_delay_alu instid0(VALU_DEP_2) | instskip(NEXT) | instid1(VALU_DEP_1)
	v_sub_nc_u32_e32 v6, v7, v6
	v_subrev_nc_u32_e32 v10, s18, v6
	v_cmp_le_u32_e32 vcc_lo, s18, v6
	s_wait_alu 0xfffd
	s_delay_alu instid0(VALU_DEP_2) | instskip(SKIP_2) | instid1(VALU_DEP_3)
	v_cndmask_b32_e32 v6, v6, v10, vcc_lo
	v_mov_b32_e32 v10, v5
	v_cndmask_b32_e32 v2, v2, v9, vcc_lo
	v_cmp_le_u32_e32 vcc_lo, s18, v6
	s_delay_alu instid0(VALU_DEP_2) | instskip(SKIP_1) | instid1(VALU_DEP_1)
	v_add_nc_u32_e32 v9, 1, v2
	s_wait_alu 0xfffd
	v_cndmask_b32_e32 v9, v2, v9, vcc_lo
.LBB0_6:                                ;   in Loop: Header=BB0_2 Depth=1
	s_wait_alu 0xfffe
	s_or_b32 exec_lo, exec_lo, s2
	s_load_b64 s[20:21], s[12:13], 0x0
	v_mul_lo_u32 v2, v10, s18
	v_mul_lo_u32 v6, v9, s19
	v_mad_co_u64_u32 v[11:12], null, v9, s18, 0
	s_add_nc_u64 s[14:15], s[14:15], 1
	s_add_nc_u64 s[12:13], s[12:13], 8
	s_wait_alu 0xfffe
	v_cmp_ge_u64_e64 s2, s[14:15], s[6:7]
	s_add_nc_u64 s[16:17], s[16:17], 8
	s_delay_alu instid0(VALU_DEP_2) | instskip(NEXT) | instid1(VALU_DEP_3)
	v_add3_u32 v2, v12, v6, v2
	v_sub_co_u32 v6, vcc_lo, v7, v11
	s_wait_alu 0xfffd
	s_delay_alu instid0(VALU_DEP_2) | instskip(SKIP_3) | instid1(VALU_DEP_2)
	v_sub_co_ci_u32_e32 v2, vcc_lo, v8, v2, vcc_lo
	s_and_b32 vcc_lo, exec_lo, s2
	s_wait_kmcnt 0x0
	v_mul_lo_u32 v7, s21, v6
	v_mul_lo_u32 v2, s20, v2
	v_mad_co_u64_u32 v[3:4], null, s20, v6, v[3:4]
	s_delay_alu instid0(VALU_DEP_1)
	v_add3_u32 v4, v7, v4, v2
	s_wait_alu 0xfffe
	s_cbranch_vccnz .LBB0_8
; %bb.7:                                ;   in Loop: Header=BB0_2 Depth=1
	v_dual_mov_b32 v7, v9 :: v_dual_mov_b32 v8, v10
	s_branch .LBB0_2
.LBB0_8:
	s_lshl_b64 s[2:3], s[6:7], 3
	v_mul_hi_u32 v2, 0xaaaaaaab, v1
	s_wait_alu 0xfffe
	s_add_nc_u64 s[2:3], s[10:11], s[2:3]
	s_load_b64 s[0:1], s[0:1], 0x20
	s_load_b64 s[2:3], s[2:3], 0x0
	v_mul_hi_u32 v5, 0x1999999a, v0
	s_delay_alu instid0(VALU_DEP_2) | instskip(NEXT) | instid1(VALU_DEP_1)
	v_lshrrev_b32_e32 v2, 2, v2
	v_mul_lo_u32 v6, v2, 6
	s_delay_alu instid0(VALU_DEP_1)
	v_sub_nc_u32_e32 v1, v1, v6
	s_wait_kmcnt 0x0
	v_cmp_gt_u64_e32 vcc_lo, s[0:1], v[9:10]
	v_mul_lo_u32 v7, s2, v10
	v_mul_lo_u32 v8, s3, v9
	v_mad_co_u64_u32 v[2:3], null, s2, v9, v[3:4]
	v_mul_u32_u24_e32 v4, 10, v5
	v_mul_u32_u24_e32 v1, 61, v1
	s_delay_alu instid0(VALU_DEP_3) | instskip(NEXT) | instid1(VALU_DEP_3)
	v_add3_u32 v3, v8, v3, v7
	v_sub_nc_u32_e32 v8, v0, v4
	s_delay_alu instid0(VALU_DEP_3) | instskip(NEXT) | instid1(VALU_DEP_3)
	v_lshlrev_b32_e32 v0, 3, v1
	v_lshlrev_b64_e32 v[10:11], 3, v[2:3]
	s_delay_alu instid0(VALU_DEP_3)
	v_lshlrev_b32_e32 v25, 3, v8
	s_and_saveexec_b32 s1, vcc_lo
	s_cbranch_execz .LBB0_10
; %bb.9:
	v_mov_b32_e32 v9, 0
	s_delay_alu instid0(VALU_DEP_3) | instskip(SKIP_2) | instid1(VALU_DEP_3)
	v_add_co_u32 v3, s0, s8, v10
	s_wait_alu 0xf1ff
	v_add_co_ci_u32_e64 v4, s0, s9, v11, s0
	v_lshlrev_b64_e32 v[1:2], 3, v[8:9]
	v_add3_u32 v7, 0, v0, v25
	s_delay_alu instid0(VALU_DEP_2) | instskip(SKIP_1) | instid1(VALU_DEP_3)
	v_add_co_u32 v1, s0, v3, v1
	s_wait_alu 0xf1ff
	v_add_co_ci_u32_e64 v2, s0, v4, v2, s0
	s_clause 0x5
	global_load_b64 v[3:4], v[1:2], off
	global_load_b64 v[5:6], v[1:2], off offset:80
	global_load_b64 v[12:13], v[1:2], off offset:160
	;; [unrolled: 1-line block ×5, first 2 shown]
	s_wait_loadcnt 0x4
	ds_store_2addr_b64 v7, v[3:4], v[5:6] offset1:10
	s_wait_loadcnt 0x2
	ds_store_2addr_b64 v7, v[12:13], v[14:15] offset0:20 offset1:30
	s_wait_loadcnt 0x0
	ds_store_2addr_b64 v7, v[16:17], v[1:2] offset0:40 offset1:50
.LBB0_10:
	s_wait_alu 0xfffe
	s_or_b32 exec_lo, exec_lo, s1
	v_add3_u32 v26, 0, v25, v0
	global_wb scope:SCOPE_SE
	s_wait_dscnt 0x0
	s_barrier_signal -1
	v_add_nc_u32_e32 v9, 0, v0
	s_barrier_wait -1
	global_inv scope:SCOPE_SE
	ds_load_2addr_b64 v[0:3], v26 offset0:10 offset1:20
	ds_load_2addr_b64 v[4:7], v26 offset0:30 offset1:40
	v_cmp_gt_u32_e64 s0, 6, v8
	s_wait_dscnt 0x0
	v_add_f32_e32 v14, v2, v6
	v_dual_sub_f32 v15, v3, v7 :: v_dual_add_nc_u32 v24, v9, v25
	v_dual_add_f32 v18, v0, v4 :: v_dual_add_f32 v19, v1, v5
	ds_load_b64 v[21:22], v24
	ds_load_b64 v[12:13], v26 offset:400
	v_dual_add_f32 v16, v3, v7 :: v_dual_sub_f32 v17, v2, v6
	global_wb scope:SCOPE_SE
	s_wait_dscnt 0x0
	s_barrier_signal -1
	s_barrier_wait -1
	global_inv scope:SCOPE_SE
	v_dual_add_f32 v2, v21, v2 :: v_dual_add_f32 v3, v22, v3
	v_fma_f32 v23, -0.5, v14, v21
	v_add_f32_e32 v14, v18, v12
	v_sub_f32_e32 v18, v5, v13
	v_add_f32_e32 v5, v5, v13
	v_dual_add_f32 v3, v3, v7 :: v_dual_fmac_f32 v22, -0.5, v16
	v_dual_add_f32 v19, v19, v13 :: v_dual_add_f32 v16, v4, v12
	v_sub_f32_e32 v4, v4, v12
	s_delay_alu instid0(VALU_DEP_4) | instskip(NEXT) | instid1(VALU_DEP_4)
	v_fma_f32 v1, -0.5, v5, v1
	v_dual_fmamk_f32 v5, v17, 0x3f5db3d7, v22 :: v_dual_add_f32 v2, v2, v6
	v_fmac_f32_e32 v22, 0xbf5db3d7, v17
	s_delay_alu instid0(VALU_DEP_3)
	v_fmamk_f32 v7, v4, 0x3f5db3d7, v1
	v_fmac_f32_e32 v1, 0xbf5db3d7, v4
	v_fmamk_f32 v6, v15, 0xbf5db3d7, v23
	v_fmac_f32_e32 v23, 0x3f5db3d7, v15
	v_fma_f32 v0, -0.5, v16, v0
	v_mul_f32_e32 v15, 0xbf5db3d7, v7
	v_dual_mul_f32 v27, 0xbf5db3d7, v1 :: v_dual_add_f32 v12, v2, v14
	s_delay_alu instid0(VALU_DEP_3) | instskip(SKIP_2) | instid1(VALU_DEP_2)
	v_dual_mul_f32 v1, -0.5, v1 :: v_dual_fmamk_f32 v4, v18, 0xbf5db3d7, v0
	v_dual_fmac_f32 v0, 0x3f5db3d7, v18 :: v_dual_mul_f32 v7, 0.5, v7
	v_dual_add_f32 v13, v3, v19 :: v_dual_sub_f32 v14, v2, v14
	v_fmac_f32_e32 v27, -0.5, v0
	s_delay_alu instid0(VALU_DEP_1) | instskip(NEXT) | instid1(VALU_DEP_1)
	v_dual_fmac_f32 v15, 0.5, v4 :: v_dual_add_f32 v20, v23, v27
	v_dual_fmac_f32 v7, 0x3f5db3d7, v4 :: v_dual_sub_f32 v18, v6, v15
	v_dual_add_f32 v16, v6, v15 :: v_dual_fmac_f32 v1, 0x3f5db3d7, v0
	v_sub_f32_e32 v4, v23, v27
	s_delay_alu instid0(VALU_DEP_3)
	v_add_f32_e32 v17, v5, v7
	v_sub_f32_e32 v15, v3, v19
	v_sub_f32_e32 v19, v5, v7
	v_add_f32_e32 v21, v22, v1
	v_sub_f32_e32 v5, v22, v1
	v_mad_u32_u24 v0, v8, 40, v26
	ds_store_2addr_b64 v0, v[12:13], v[16:17] offset1:1
	ds_store_2addr_b64 v0, v[20:21], v[14:15] offset0:2 offset1:3
	ds_store_2addr_b64 v0, v[18:19], v[4:5] offset0:4 offset1:5
	global_wb scope:SCOPE_SE
	s_wait_dscnt 0x0
	s_barrier_signal -1
	s_barrier_wait -1
	global_inv scope:SCOPE_SE
                                        ; implicit-def: $vgpr23
                                        ; implicit-def: $vgpr3
                                        ; implicit-def: $vgpr7
	s_and_saveexec_b32 s1, s0
	s_cbranch_execz .LBB0_12
; %bb.11:
	ds_load_2addr_b64 v[4:7], v26 offset0:30 offset1:36
	ds_load_2addr_b64 v[14:17], v26 offset0:18 offset1:24
	;; [unrolled: 1-line block ×4, first 2 shown]
	ds_load_b64 v[12:13], v24
	ds_load_b64 v[22:23], v26 offset:432
	s_wait_dscnt 0x4
	v_dual_mov_b32 v19, v17 :: v_dual_mov_b32 v18, v16
	s_wait_dscnt 0x3
	v_dual_mov_b32 v21, v30 :: v_dual_mov_b32 v20, v29
	v_dual_mov_b32 v17, v28 :: v_dual_mov_b32 v16, v27
.LBB0_12:
	s_wait_alu 0xfffe
	s_or_b32 exec_lo, exec_lo, s1
	global_wb scope:SCOPE_SE
	s_wait_dscnt 0x0
	s_barrier_signal -1
	s_barrier_wait -1
	global_inv scope:SCOPE_SE
	s_and_saveexec_b32 s1, s0
	s_cbranch_execz .LBB0_14
; %bb.13:
	v_dual_mov_b32 v28, 0 :: v_dual_add_nc_u32 v27, -6, v8
	s_delay_alu instid0(VALU_DEP_1) | instskip(NEXT) | instid1(VALU_DEP_1)
	v_cndmask_b32_e64 v27, v27, v8, s0
	v_mul_i32_i24_e32 v27, 9, v27
	s_delay_alu instid0(VALU_DEP_1) | instskip(NEXT) | instid1(VALU_DEP_1)
	v_lshlrev_b64_e32 v[27:28], 3, v[27:28]
	v_add_co_u32 v43, s0, s4, v27
	s_wait_alu 0xf1ff
	s_delay_alu instid0(VALU_DEP_2)
	v_add_co_ci_u32_e64 v44, s0, s5, v28, s0
	s_clause 0x4
	global_load_b128 v[27:30], v[43:44], off
	global_load_b128 v[31:34], v[43:44], off offset:16
	global_load_b128 v[35:38], v[43:44], off offset:48
	;; [unrolled: 1-line block ×3, first 2 shown]
	global_load_b64 v[43:44], v[43:44], off offset:64
	s_wait_loadcnt 0x4
	v_mul_f32_e32 v45, v20, v30
	s_wait_loadcnt 0x3
	v_dual_mul_f32 v46, v18, v34 :: v_dual_mul_f32 v49, v15, v32
	s_wait_loadcnt 0x0
	v_dual_mul_f32 v48, v6, v42 :: v_dual_mul_f32 v51, v23, v44
	v_dual_mul_f32 v47, v2, v38 :: v_dual_mul_f32 v52, v1, v36
	s_delay_alu instid0(VALU_DEP_3) | instskip(SKIP_1) | instid1(VALU_DEP_4)
	v_dual_mul_f32 v30, v21, v30 :: v_dual_fmac_f32 v49, v14, v31
	v_dual_mul_f32 v38, v3, v38 :: v_dual_mul_f32 v53, v17, v28
	v_dual_mul_f32 v34, v19, v34 :: v_dual_fmac_f32 v51, v22, v43
	v_mul_f32_e32 v42, v7, v42
	v_fma_f32 v19, v19, v33, -v46
	s_delay_alu instid0(VALU_DEP_4)
	v_fmac_f32_e32 v53, v16, v27
	v_fma_f32 v7, v7, v41, -v48
	v_mul_f32_e32 v32, v14, v32
	v_mul_f32_e32 v50, v5, v40
	;; [unrolled: 1-line block ×3, first 2 shown]
	v_fma_f32 v21, v21, v29, -v45
	v_fma_f32 v3, v3, v37, -v47
	v_fmac_f32_e32 v34, v18, v33
	v_fmac_f32_e32 v52, v0, v35
	v_fma_f32 v0, v15, v31, -v32
	v_mul_f32_e32 v44, v22, v44
	v_dual_fmac_f32 v42, v6, v41 :: v_dual_add_f32 v41, v49, v51
	v_mul_f32_e32 v40, v4, v40
	v_mul_f32_e32 v28, v16, v28
	v_dual_fmac_f32 v38, v2, v37 :: v_dual_add_f32 v37, v21, v3
	v_fmac_f32_e32 v50, v4, v39
	v_fmac_f32_e32 v30, v20, v29
	v_fma_f32 v2, v23, v43, -v44
	v_fma_f32 v4, v5, v39, -v40
	;; [unrolled: 1-line block ×3, first 2 shown]
	v_dual_sub_f32 v33, v50, v52 :: v_dual_sub_f32 v6, v21, v19
	v_sub_f32_e32 v14, v3, v7
	v_add_f32_e32 v15, v19, v7
	s_delay_alu instid0(VALU_DEP_4)
	v_dual_add_f32 v31, v4, v1 :: v_dual_sub_f32 v16, v30, v38
	v_sub_f32_e32 v29, v2, v1
	v_sub_f32_e32 v35, v19, v21
	v_fma_f32 v5, v17, v27, -v28
	v_sub_f32_e32 v27, v4, v1
	v_sub_f32_e32 v43, v4, v0
	v_dual_sub_f32 v28, v0, v4 :: v_dual_sub_f32 v57, v42, v38
	v_sub_f32_e32 v47, v30, v34
	v_dual_sub_f32 v18, v49, v50 :: v_dual_sub_f32 v55, v19, v7
	v_dual_sub_f32 v39, v50, v49 :: v_dual_sub_f32 v20, v51, v52
	v_add_f32_e32 v45, v0, v2
	v_sub_f32_e32 v44, v1, v2
	v_sub_f32_e32 v40, v52, v51
	;; [unrolled: 1-line block ×4, first 2 shown]
	v_add_f32_e32 v6, v6, v14
	v_fma_f32 v14, -0.5, v15, v13
	v_sub_f32_e32 v17, v34, v42
	v_dual_add_f32 v22, v50, v52 :: v_dual_sub_f32 v23, v0, v2
	v_dual_sub_f32 v32, v49, v51 :: v_dual_add_f32 v15, v18, v20
	v_add_f32_e32 v46, v13, v21
	v_dual_sub_f32 v21, v21, v3 :: v_dual_add_f32 v20, v28, v29
	v_fma_f32 v29, -0.5, v37, v13
	v_add_f32_e32 v54, v34, v42
	v_dual_add_f32 v58, v30, v38 :: v_dual_add_f32 v37, v56, v57
	v_add_f32_e32 v28, v35, v36
	v_add_f32_e32 v35, v43, v44
	v_add_f32_e32 v13, v39, v40
	v_dual_fmamk_f32 v39, v16, 0xbf737871, v14 :: v_dual_add_f32 v0, v5, v0
	v_add_f32_e32 v19, v46, v19
	v_add_f32_e32 v49, v53, v49
	v_fma_f32 v18, -0.5, v22, v53
	v_fma_f32 v22, -0.5, v31, v5
	v_sub_f32_e32 v48, v38, v42
	v_fma_f32 v31, -0.5, v41, v53
	v_add_f32_e32 v30, v12, v30
	v_fma_f32 v5, -0.5, v45, v5
	v_fmamk_f32 v43, v17, 0x3f737871, v29
	v_fma_f32 v36, -0.5, v54, v12
	v_fmac_f32_e32 v29, 0xbf737871, v17
	v_fma_f32 v12, -0.5, v58, v12
	v_add_f32_e32 v0, v0, v4
	v_dual_fmamk_f32 v41, v32, 0xbf737871, v22 :: v_dual_add_f32 v4, v47, v48
	v_fmac_f32_e32 v39, 0xbf167918, v17
	v_fmamk_f32 v44, v27, 0xbf737871, v31
	v_fmamk_f32 v45, v33, 0x3f737871, v5
	v_dual_fmac_f32 v31, 0x3f737871, v27 :: v_dual_add_f32 v30, v30, v34
	v_fmac_f32_e32 v41, 0xbf167918, v33
	v_add_f32_e32 v7, v19, v7
	v_dual_fmamk_f32 v47, v55, 0xbf737871, v12 :: v_dual_add_f32 v0, v0, v1
	v_dual_fmac_f32 v45, 0xbf167918, v32 :: v_dual_add_f32 v34, v49, v50
	v_fmac_f32_e32 v43, 0xbf167918, v16
	v_fmamk_f32 v40, v23, 0x3f737871, v18
	v_dual_fmac_f32 v14, 0x3f737871, v16 :: v_dual_add_f32 v3, v7, v3
	v_add_f32_e32 v1, v30, v42
	v_dual_fmac_f32 v31, 0xbf167918, v23 :: v_dual_add_f32 v2, v0, v2
	v_fmac_f32_e32 v22, 0x3f737871, v32
	v_dual_fmac_f32 v5, 0xbf737871, v33 :: v_dual_fmac_f32 v18, 0xbf737871, v23
	v_dual_add_f32 v19, v34, v52 :: v_dual_fmac_f32 v40, 0x3f167918, v27
	v_fmac_f32_e32 v29, 0x3f167918, v16
	v_add_f32_e32 v7, v1, v38
	v_sub_f32_e32 v1, v3, v2
	v_dual_add_f32 v3, v3, v2 :: v_dual_fmac_f32 v22, 0x3f167918, v33
	v_dual_fmac_f32 v44, 0x3f167918, v23 :: v_dual_fmac_f32 v5, 0x3f167918, v32
	v_dual_add_f32 v16, v19, v51 :: v_dual_fmac_f32 v39, 0x3e9e377a, v6
	v_fmamk_f32 v46, v21, 0x3f737871, v36
	v_dual_fmac_f32 v40, 0x3e9e377a, v15 :: v_dual_fmac_f32 v41, 0x3e9e377a, v20
	v_fmac_f32_e32 v18, 0xbf167918, v27
	v_dual_fmac_f32 v31, 0x3e9e377a, v13 :: v_dual_fmac_f32 v22, 0x3e9e377a, v20
	s_delay_alu instid0(VALU_DEP_4) | instskip(SKIP_1) | instid1(VALU_DEP_3)
	v_dual_fmac_f32 v46, 0x3f167918, v55 :: v_dual_fmac_f32 v47, 0x3f167918, v21
	v_dual_fmac_f32 v5, 0x3e9e377a, v35 :: v_dual_sub_f32 v0, v7, v16
	v_mul_f32_e32 v23, 0x3f4f1bbd, v22
	v_mul_f32_e32 v27, 0xbf167918, v41
	v_dual_fmac_f32 v29, 0x3e9e377a, v28 :: v_dual_fmac_f32 v18, 0x3e9e377a, v15
	v_fmac_f32_e32 v14, 0x3f167918, v17
	v_fmac_f32_e32 v46, 0x3e9e377a, v4
	v_dual_mul_f32 v20, 0x3e9e377a, v5 :: v_dual_fmac_f32 v43, 0x3e9e377a, v28
	v_fmac_f32_e32 v44, 0x3e9e377a, v13
	v_fmac_f32_e32 v23, 0x3f167918, v18
	v_dual_fmac_f32 v45, 0x3e9e377a, v35 :: v_dual_fmac_f32 v14, 0x3e9e377a, v6
	v_add_f32_e32 v2, v7, v16
	v_fmac_f32_e32 v20, 0x3f737871, v31
	v_fmac_f32_e32 v36, 0xbf737871, v21
	s_delay_alu instid0(VALU_DEP_4) | instskip(SKIP_1) | instid1(VALU_DEP_4)
	v_mul_f32_e32 v16, 0xbe9e377a, v45
	v_mul_f32_e32 v30, 0xbf737871, v5
	v_dual_mul_f32 v32, 0xbf167918, v22 :: v_dual_sub_f32 v13, v29, v20
	v_fmac_f32_e32 v27, 0xbf4f1bbd, v40
	s_delay_alu instid0(VALU_DEP_4) | instskip(SKIP_3) | instid1(VALU_DEP_4)
	v_fmac_f32_e32 v16, 0x3f737871, v44
	v_fmac_f32_e32 v36, 0xbf167918, v55
	v_fmac_f32_e32 v12, 0x3f737871, v55
	v_mul_f32_e32 v28, 0xbf737871, v45
	v_dual_fmac_f32 v30, 0x3e9e377a, v31 :: v_dual_sub_f32 v7, v43, v16
	v_add_f32_e32 v19, v43, v16
	v_dual_fmac_f32 v47, 0x3e9e377a, v37 :: v_dual_fmac_f32 v36, 0x3e9e377a, v4
	v_mul_f32_e32 v4, 0xbf4f1bbd, v41
	v_fmac_f32_e32 v32, 0x3f4f1bbd, v18
	v_dual_fmac_f32 v28, 0xbe9e377a, v44 :: v_dual_sub_f32 v15, v14, v23
	s_delay_alu instid0(VALU_DEP_3) | instskip(SKIP_1) | instid1(VALU_DEP_4)
	v_dual_add_f32 v23, v14, v23 :: v_dual_fmac_f32 v4, 0x3f167918, v40
	v_dual_fmac_f32 v12, 0xbf167918, v21 :: v_dual_add_f32 v21, v29, v20
	v_add_f32_e32 v22, v36, v32
	s_delay_alu instid0(VALU_DEP_3) | instskip(NEXT) | instid1(VALU_DEP_3)
	v_dual_add_f32 v16, v46, v27 :: v_dual_add_f32 v17, v39, v4
	v_fmac_f32_e32 v12, 0x3e9e377a, v37
	v_add_f32_e32 v18, v47, v28
	v_sub_f32_e32 v14, v36, v32
	v_sub_f32_e32 v6, v47, v28
	s_delay_alu instid0(VALU_DEP_4)
	v_dual_sub_f32 v5, v39, v4 :: v_dual_add_f32 v20, v12, v30
	v_sub_f32_e32 v12, v12, v30
	v_sub_f32_e32 v4, v46, v27
	ds_store_2addr_b64 v26, v[22:23], v[20:21] offset0:6 offset1:12
	ds_store_2addr_b64 v26, v[18:19], v[16:17] offset0:18 offset1:24
	;; [unrolled: 1-line block ×4, first 2 shown]
	ds_store_b64 v24, v[2:3]
	ds_store_b64 v26, v[4:5] offset:432
.LBB0_14:
	s_wait_alu 0xfffe
	s_or_b32 exec_lo, exec_lo, s1
	global_wb scope:SCOPE_SE
	s_wait_dscnt 0x0
	s_barrier_signal -1
	s_barrier_wait -1
	global_inv scope:SCOPE_SE
	ds_load_b64 v[0:1], v24
	v_sub_nc_u32_e32 v6, v9, v25
	s_mov_b32 s1, exec_lo
                                        ; implicit-def: $vgpr2
                                        ; implicit-def: $vgpr7
                                        ; implicit-def: $vgpr12
                                        ; implicit-def: $vgpr4_vgpr5
	v_cmpx_ne_u32_e32 0, v8
	s_wait_alu 0xfffe
	s_xor_b32 s1, exec_lo, s1
	s_cbranch_execz .LBB0_16
; %bb.15:
	ds_load_b64 v[4:5], v6 offset:480
	s_wait_dscnt 0x0
	v_dual_mov_b32 v9, 0 :: v_dual_add_f32 v12, v5, v1
	s_delay_alu instid0(VALU_DEP_1) | instskip(SKIP_1) | instid1(VALU_DEP_3)
	v_lshlrev_b64_e32 v[2:3], 3, v[8:9]
	v_sub_f32_e32 v1, v1, v5
	v_mul_f32_e32 v13, 0.5, v12
	s_delay_alu instid0(VALU_DEP_3) | instskip(SKIP_1) | instid1(VALU_DEP_4)
	v_add_co_u32 v2, s0, s4, v2
	s_wait_alu 0xf1ff
	v_add_co_ci_u32_e64 v3, s0, s5, v3, s0
	global_load_b64 v[2:3], v[2:3], off offset:432
	v_sub_f32_e32 v7, v0, v4
	v_dual_add_f32 v0, v4, v0 :: v_dual_mul_f32 v1, 0.5, v1
	s_delay_alu instid0(VALU_DEP_2) | instskip(SKIP_1) | instid1(VALU_DEP_1)
	v_mul_f32_e32 v5, 0.5, v7
	s_wait_loadcnt 0x0
	v_mul_f32_e32 v4, v3, v5
	s_delay_alu instid0(VALU_DEP_3) | instskip(SKIP_1) | instid1(VALU_DEP_3)
	v_fma_f32 v12, v13, v3, v1
	v_fma_f32 v1, v13, v3, -v1
	v_fma_f32 v7, 0.5, v0, v4
	v_fma_f32 v0, v0, 0.5, -v4
	s_delay_alu instid0(VALU_DEP_4) | instskip(NEXT) | instid1(VALU_DEP_4)
	v_fma_f32 v12, -v2, v5, v12
	v_fma_f32 v3, -v2, v5, v1
	s_delay_alu instid0(VALU_DEP_4) | instskip(NEXT) | instid1(VALU_DEP_4)
	v_dual_mov_b32 v4, v8 :: v_dual_fmac_f32 v7, v2, v13
	v_fma_f32 v2, -v2, v13, v0
	v_mov_b32_e32 v5, v9
                                        ; implicit-def: $vgpr0_vgpr1
                                        ; implicit-def: $vgpr9
.LBB0_16:
	s_wait_alu 0xfffe
	s_and_not1_saveexec_b32 s0, s1
	s_cbranch_execz .LBB0_18
; %bb.17:
	ds_load_b32 v3, v9 offset:244
	s_wait_dscnt 0x1
	v_dual_add_f32 v7, v0, v1 :: v_dual_mov_b32 v4, 0
	v_dual_sub_f32 v2, v0, v1 :: v_dual_mov_b32 v5, 0
	v_mov_b32_e32 v12, 0
	s_wait_dscnt 0x0
	v_xor_b32_e32 v0, 0x80000000, v3
	v_mov_b32_e32 v3, 0
	ds_store_b32 v9, v0 offset:244
.LBB0_18:
	s_wait_alu 0xfffe
	s_or_b32 exec_lo, exec_lo, s0
	s_wait_dscnt 0x0
	v_lshlrev_b64_e32 v[0:1], 3, v[4:5]
	s_add_nc_u64 s[0:1], s[4:5], 0x1b0
	s_wait_alu 0xfffe
	s_delay_alu instid0(VALU_DEP_1) | instskip(SKIP_1) | instid1(VALU_DEP_2)
	v_add_co_u32 v4, s0, s0, v0
	s_wait_alu 0xf1ff
	v_add_co_ci_u32_e64 v5, s0, s1, v1, s0
	s_clause 0x1
	global_load_b64 v[13:14], v[4:5], off offset:80
	global_load_b64 v[4:5], v[4:5], off offset:160
	ds_store_2addr_b32 v24, v7, v12 offset1:1
	ds_store_b64 v6, v[2:3] offset:480
	ds_load_b64 v[2:3], v24 offset:80
	ds_load_b64 v[15:16], v6 offset:400
	s_wait_dscnt 0x0
	v_add_f32_e32 v9, v3, v16
	s_delay_alu instid0(VALU_DEP_1) | instskip(SKIP_2) | instid1(VALU_DEP_2)
	v_mul_f32_e32 v9, 0.5, v9
	v_sub_f32_e32 v7, v2, v15
	v_add_f32_e32 v2, v2, v15
	v_mul_f32_e32 v7, 0.5, v7
	s_wait_loadcnt 0x1
	s_delay_alu instid0(VALU_DEP_1) | instskip(NEXT) | instid1(VALU_DEP_1)
	v_dual_sub_f32 v3, v3, v16 :: v_dual_mul_f32 v12, v14, v7
	v_mul_f32_e32 v3, 0.5, v3
	s_delay_alu instid0(VALU_DEP_1) | instskip(SKIP_1) | instid1(VALU_DEP_4)
	v_fma_f32 v15, v9, v14, v3
	v_fma_f32 v3, v9, v14, -v3
	v_fma_f32 v14, 0.5, v2, v12
	v_fma_f32 v2, v2, 0.5, -v12
	s_delay_alu instid0(VALU_DEP_4) | instskip(NEXT) | instid1(VALU_DEP_4)
	v_fma_f32 v12, -v13, v7, v15
	v_fma_f32 v3, -v13, v7, v3
	s_delay_alu instid0(VALU_DEP_4) | instskip(NEXT) | instid1(VALU_DEP_4)
	v_fmac_f32_e32 v14, v13, v9
	v_fma_f32 v2, -v13, v9, v2
	ds_store_2addr_b32 v24, v14, v12 offset0:20 offset1:21
	ds_store_b64 v6, v[2:3] offset:400
	ds_load_b64 v[2:3], v24 offset:160
	ds_load_b64 v[12:13], v6 offset:320
	s_wait_dscnt 0x0
	v_sub_f32_e32 v7, v2, v12
	v_add_f32_e32 v9, v3, v13
	v_dual_sub_f32 v3, v3, v13 :: v_dual_add_f32 v2, v2, v12
	s_delay_alu instid0(VALU_DEP_3) | instskip(NEXT) | instid1(VALU_DEP_3)
	v_mul_f32_e32 v7, 0.5, v7
	v_mul_f32_e32 v9, 0.5, v9
	s_delay_alu instid0(VALU_DEP_3) | instskip(SKIP_1) | instid1(VALU_DEP_3)
	v_mul_f32_e32 v3, 0.5, v3
	s_wait_loadcnt 0x0
	v_mul_f32_e32 v12, v5, v7
	s_delay_alu instid0(VALU_DEP_2) | instskip(SKIP_1) | instid1(VALU_DEP_3)
	v_fma_f32 v13, v9, v5, v3
	v_fma_f32 v3, v9, v5, -v3
	v_fma_f32 v5, 0.5, v2, v12
	v_fma_f32 v2, v2, 0.5, -v12
	s_delay_alu instid0(VALU_DEP_4) | instskip(NEXT) | instid1(VALU_DEP_4)
	v_fma_f32 v12, -v4, v7, v13
	v_fma_f32 v3, -v4, v7, v3
	s_delay_alu instid0(VALU_DEP_4) | instskip(NEXT) | instid1(VALU_DEP_4)
	v_fmac_f32_e32 v5, v4, v9
	v_fma_f32 v2, -v4, v9, v2
	ds_store_2addr_b32 v24, v5, v12 offset0:40 offset1:41
	ds_store_b64 v6, v[2:3] offset:320
	global_wb scope:SCOPE_SE
	s_wait_dscnt 0x0
	s_barrier_signal -1
	s_barrier_wait -1
	global_inv scope:SCOPE_SE
	s_and_saveexec_b32 s0, vcc_lo
	s_cbranch_execz .LBB0_21
; %bb.19:
	ds_load_2addr_b64 v[4:7], v24 offset1:10
	ds_load_2addr_b64 v[12:15], v24 offset0:20 offset1:30
	ds_load_2addr_b64 v[16:19], v24 offset0:40 offset1:50
	v_add_co_u32 v2, vcc_lo, s8, v10
	s_wait_alu 0xfffd
	v_add_co_ci_u32_e32 v3, vcc_lo, s9, v11, vcc_lo
	s_delay_alu instid0(VALU_DEP_2) | instskip(SKIP_1) | instid1(VALU_DEP_2)
	v_add_co_u32 v0, vcc_lo, v2, v0
	s_wait_alu 0xfffd
	v_add_co_ci_u32_e32 v1, vcc_lo, v3, v1, vcc_lo
	v_cmp_eq_u32_e32 vcc_lo, 9, v8
	s_wait_dscnt 0x2
	s_clause 0x1
	global_store_b64 v[0:1], v[4:5], off
	global_store_b64 v[0:1], v[6:7], off offset:80
	s_wait_dscnt 0x1
	s_clause 0x1
	global_store_b64 v[0:1], v[12:13], off offset:160
	global_store_b64 v[0:1], v[14:15], off offset:240
	s_wait_dscnt 0x0
	s_clause 0x1
	global_store_b64 v[0:1], v[16:17], off offset:320
	global_store_b64 v[0:1], v[18:19], off offset:400
	s_and_b32 exec_lo, exec_lo, vcc_lo
	s_cbranch_execz .LBB0_21
; %bb.20:
	ds_load_b64 v[0:1], v24 offset:408
	s_wait_dscnt 0x0
	global_store_b64 v[2:3], v[0:1], off offset:480
.LBB0_21:
	s_nop 0
	s_sendmsg sendmsg(MSG_DEALLOC_VGPRS)
	s_endpgm
	.section	.rodata,"a",@progbits
	.p2align	6, 0x0
	.amdhsa_kernel fft_rtc_back_len60_factors_6_10_wgs_60_tpt_10_halfLds_sp_ip_CI_unitstride_sbrr_R2C_dirReg
		.amdhsa_group_segment_fixed_size 0
		.amdhsa_private_segment_fixed_size 0
		.amdhsa_kernarg_size 88
		.amdhsa_user_sgpr_count 2
		.amdhsa_user_sgpr_dispatch_ptr 0
		.amdhsa_user_sgpr_queue_ptr 0
		.amdhsa_user_sgpr_kernarg_segment_ptr 1
		.amdhsa_user_sgpr_dispatch_id 0
		.amdhsa_user_sgpr_private_segment_size 0
		.amdhsa_wavefront_size32 1
		.amdhsa_uses_dynamic_stack 0
		.amdhsa_enable_private_segment 0
		.amdhsa_system_sgpr_workgroup_id_x 1
		.amdhsa_system_sgpr_workgroup_id_y 0
		.amdhsa_system_sgpr_workgroup_id_z 0
		.amdhsa_system_sgpr_workgroup_info 0
		.amdhsa_system_vgpr_workitem_id 0
		.amdhsa_next_free_vgpr 59
		.amdhsa_next_free_sgpr 32
		.amdhsa_reserve_vcc 1
		.amdhsa_float_round_mode_32 0
		.amdhsa_float_round_mode_16_64 0
		.amdhsa_float_denorm_mode_32 3
		.amdhsa_float_denorm_mode_16_64 3
		.amdhsa_fp16_overflow 0
		.amdhsa_workgroup_processor_mode 1
		.amdhsa_memory_ordered 1
		.amdhsa_forward_progress 0
		.amdhsa_round_robin_scheduling 0
		.amdhsa_exception_fp_ieee_invalid_op 0
		.amdhsa_exception_fp_denorm_src 0
		.amdhsa_exception_fp_ieee_div_zero 0
		.amdhsa_exception_fp_ieee_overflow 0
		.amdhsa_exception_fp_ieee_underflow 0
		.amdhsa_exception_fp_ieee_inexact 0
		.amdhsa_exception_int_div_zero 0
	.end_amdhsa_kernel
	.text
.Lfunc_end0:
	.size	fft_rtc_back_len60_factors_6_10_wgs_60_tpt_10_halfLds_sp_ip_CI_unitstride_sbrr_R2C_dirReg, .Lfunc_end0-fft_rtc_back_len60_factors_6_10_wgs_60_tpt_10_halfLds_sp_ip_CI_unitstride_sbrr_R2C_dirReg
                                        ; -- End function
	.section	.AMDGPU.csdata,"",@progbits
; Kernel info:
; codeLenInByte = 4344
; NumSgprs: 34
; NumVgprs: 59
; ScratchSize: 0
; MemoryBound: 0
; FloatMode: 240
; IeeeMode: 1
; LDSByteSize: 0 bytes/workgroup (compile time only)
; SGPRBlocks: 4
; VGPRBlocks: 7
; NumSGPRsForWavesPerEU: 34
; NumVGPRsForWavesPerEU: 59
; Occupancy: 16
; WaveLimiterHint : 1
; COMPUTE_PGM_RSRC2:SCRATCH_EN: 0
; COMPUTE_PGM_RSRC2:USER_SGPR: 2
; COMPUTE_PGM_RSRC2:TRAP_HANDLER: 0
; COMPUTE_PGM_RSRC2:TGID_X_EN: 1
; COMPUTE_PGM_RSRC2:TGID_Y_EN: 0
; COMPUTE_PGM_RSRC2:TGID_Z_EN: 0
; COMPUTE_PGM_RSRC2:TIDIG_COMP_CNT: 0
	.text
	.p2alignl 7, 3214868480
	.fill 96, 4, 3214868480
	.type	__hip_cuid_f4175512f28e4c7a,@object ; @__hip_cuid_f4175512f28e4c7a
	.section	.bss,"aw",@nobits
	.globl	__hip_cuid_f4175512f28e4c7a
__hip_cuid_f4175512f28e4c7a:
	.byte	0                               ; 0x0
	.size	__hip_cuid_f4175512f28e4c7a, 1

	.ident	"AMD clang version 19.0.0git (https://github.com/RadeonOpenCompute/llvm-project roc-6.4.0 25133 c7fe45cf4b819c5991fe208aaa96edf142730f1d)"
	.section	".note.GNU-stack","",@progbits
	.addrsig
	.addrsig_sym __hip_cuid_f4175512f28e4c7a
	.amdgpu_metadata
---
amdhsa.kernels:
  - .args:
      - .actual_access:  read_only
        .address_space:  global
        .offset:         0
        .size:           8
        .value_kind:     global_buffer
      - .offset:         8
        .size:           8
        .value_kind:     by_value
      - .actual_access:  read_only
        .address_space:  global
        .offset:         16
        .size:           8
        .value_kind:     global_buffer
      - .actual_access:  read_only
        .address_space:  global
        .offset:         24
        .size:           8
        .value_kind:     global_buffer
      - .offset:         32
        .size:           8
        .value_kind:     by_value
      - .actual_access:  read_only
        .address_space:  global
        .offset:         40
        .size:           8
        .value_kind:     global_buffer
      - .actual_access:  read_only
        .address_space:  global
        .offset:         48
        .size:           8
        .value_kind:     global_buffer
      - .offset:         56
        .size:           4
        .value_kind:     by_value
      - .actual_access:  read_only
        .address_space:  global
        .offset:         64
        .size:           8
        .value_kind:     global_buffer
      - .actual_access:  read_only
        .address_space:  global
        .offset:         72
        .size:           8
        .value_kind:     global_buffer
      - .address_space:  global
        .offset:         80
        .size:           8
        .value_kind:     global_buffer
    .group_segment_fixed_size: 0
    .kernarg_segment_align: 8
    .kernarg_segment_size: 88
    .language:       OpenCL C
    .language_version:
      - 2
      - 0
    .max_flat_workgroup_size: 60
    .name:           fft_rtc_back_len60_factors_6_10_wgs_60_tpt_10_halfLds_sp_ip_CI_unitstride_sbrr_R2C_dirReg
    .private_segment_fixed_size: 0
    .sgpr_count:     34
    .sgpr_spill_count: 0
    .symbol:         fft_rtc_back_len60_factors_6_10_wgs_60_tpt_10_halfLds_sp_ip_CI_unitstride_sbrr_R2C_dirReg.kd
    .uniform_work_group_size: 1
    .uses_dynamic_stack: false
    .vgpr_count:     59
    .vgpr_spill_count: 0
    .wavefront_size: 32
    .workgroup_processor_mode: 1
amdhsa.target:   amdgcn-amd-amdhsa--gfx1201
amdhsa.version:
  - 1
  - 2
...

	.end_amdgpu_metadata
